;; amdgpu-corpus repo=ROCm/rocFFT kind=compiled arch=gfx1100 opt=O3
	.text
	.amdgcn_target "amdgcn-amd-amdhsa--gfx1100"
	.amdhsa_code_object_version 6
	.protected	fft_rtc_back_len110_factors_2_5_11_wgs_198_tpt_11_sp_op_CI_CI_unitstride_sbrr_dirReg ; -- Begin function fft_rtc_back_len110_factors_2_5_11_wgs_198_tpt_11_sp_op_CI_CI_unitstride_sbrr_dirReg
	.globl	fft_rtc_back_len110_factors_2_5_11_wgs_198_tpt_11_sp_op_CI_CI_unitstride_sbrr_dirReg
	.p2align	8
	.type	fft_rtc_back_len110_factors_2_5_11_wgs_198_tpt_11_sp_op_CI_CI_unitstride_sbrr_dirReg,@function
fft_rtc_back_len110_factors_2_5_11_wgs_198_tpt_11_sp_op_CI_CI_unitstride_sbrr_dirReg: ; @fft_rtc_back_len110_factors_2_5_11_wgs_198_tpt_11_sp_op_CI_CI_unitstride_sbrr_dirReg
; %bb.0:
	s_load_b128 s[8:11], s[0:1], 0x0
	v_mul_u32_u24_e32 v1, 0x1746, v0
	s_clause 0x1
	s_load_b128 s[4:7], s[0:1], 0x58
	s_load_b128 s[16:19], s[0:1], 0x18
	v_mov_b32_e32 v5, 0
	v_mov_b32_e32 v3, 0
	;; [unrolled: 1-line block ×3, first 2 shown]
	v_lshrrev_b32_e32 v6, 16, v1
	s_delay_alu instid0(VALU_DEP_2) | instskip(NEXT) | instid1(VALU_DEP_2)
	v_dual_mov_b32 v25, v4 :: v_dual_mov_b32 v24, v3
	v_mad_u64_u32 v[1:2], null, s15, 18, v[6:7]
	v_mov_b32_e32 v2, v5
	s_delay_alu instid0(VALU_DEP_1) | instskip(SKIP_2) | instid1(VALU_DEP_1)
	v_dual_mov_b32 v28, v2 :: v_dual_mov_b32 v27, v1
	s_waitcnt lgkmcnt(0)
	v_cmp_lt_u64_e64 s2, s[10:11], 2
	s_and_b32 vcc_lo, exec_lo, s2
	s_cbranch_vccnz .LBB0_8
; %bb.1:
	s_load_b64 s[2:3], s[0:1], 0x10
	v_dual_mov_b32 v3, 0 :: v_dual_mov_b32 v8, v2
	v_dual_mov_b32 v4, 0 :: v_dual_mov_b32 v7, v1
	s_add_u32 s12, s18, 8
	s_addc_u32 s13, s19, 0
	s_add_u32 s14, s16, 8
	s_delay_alu instid0(VALU_DEP_1)
	v_dual_mov_b32 v25, v4 :: v_dual_mov_b32 v24, v3
	s_addc_u32 s15, s17, 0
	s_mov_b64 s[22:23], 1
	s_waitcnt lgkmcnt(0)
	s_add_u32 s20, s2, 8
	s_addc_u32 s21, s3, 0
.LBB0_2:                                ; =>This Inner Loop Header: Depth=1
	s_load_b64 s[24:25], s[20:21], 0x0
                                        ; implicit-def: $vgpr27_vgpr28
	s_mov_b32 s2, exec_lo
	s_waitcnt lgkmcnt(0)
	v_or_b32_e32 v6, s25, v8
	s_delay_alu instid0(VALU_DEP_1)
	v_cmpx_ne_u64_e32 0, v[5:6]
	s_xor_b32 s3, exec_lo, s2
	s_cbranch_execz .LBB0_4
; %bb.3:                                ;   in Loop: Header=BB0_2 Depth=1
	v_cvt_f32_u32_e32 v2, s24
	v_cvt_f32_u32_e32 v6, s25
	s_sub_u32 s2, 0, s24
	s_subb_u32 s26, 0, s25
	s_delay_alu instid0(VALU_DEP_1) | instskip(NEXT) | instid1(VALU_DEP_1)
	v_fmac_f32_e32 v2, 0x4f800000, v6
	v_rcp_f32_e32 v2, v2
	s_waitcnt_depctr 0xfff
	v_mul_f32_e32 v2, 0x5f7ffffc, v2
	s_delay_alu instid0(VALU_DEP_1) | instskip(NEXT) | instid1(VALU_DEP_1)
	v_mul_f32_e32 v6, 0x2f800000, v2
	v_trunc_f32_e32 v6, v6
	s_delay_alu instid0(VALU_DEP_1) | instskip(SKIP_1) | instid1(VALU_DEP_2)
	v_fmac_f32_e32 v2, 0xcf800000, v6
	v_cvt_u32_f32_e32 v6, v6
	v_cvt_u32_f32_e32 v2, v2
	s_delay_alu instid0(VALU_DEP_2) | instskip(NEXT) | instid1(VALU_DEP_2)
	v_mul_lo_u32 v9, s2, v6
	v_mul_hi_u32 v10, s2, v2
	v_mul_lo_u32 v11, s26, v2
	s_delay_alu instid0(VALU_DEP_2) | instskip(SKIP_1) | instid1(VALU_DEP_2)
	v_add_nc_u32_e32 v9, v10, v9
	v_mul_lo_u32 v10, s2, v2
	v_add_nc_u32_e32 v9, v9, v11
	s_delay_alu instid0(VALU_DEP_2) | instskip(NEXT) | instid1(VALU_DEP_2)
	v_mul_hi_u32 v11, v2, v10
	v_mul_lo_u32 v12, v2, v9
	v_mul_hi_u32 v13, v2, v9
	v_mul_hi_u32 v14, v6, v10
	v_mul_lo_u32 v10, v6, v10
	v_mul_hi_u32 v15, v6, v9
	v_mul_lo_u32 v9, v6, v9
	v_add_co_u32 v11, vcc_lo, v11, v12
	v_add_co_ci_u32_e32 v12, vcc_lo, 0, v13, vcc_lo
	s_delay_alu instid0(VALU_DEP_2) | instskip(NEXT) | instid1(VALU_DEP_2)
	v_add_co_u32 v10, vcc_lo, v11, v10
	v_add_co_ci_u32_e32 v10, vcc_lo, v12, v14, vcc_lo
	v_add_co_ci_u32_e32 v11, vcc_lo, 0, v15, vcc_lo
	s_delay_alu instid0(VALU_DEP_2) | instskip(NEXT) | instid1(VALU_DEP_2)
	v_add_co_u32 v9, vcc_lo, v10, v9
	v_add_co_ci_u32_e32 v10, vcc_lo, 0, v11, vcc_lo
	s_delay_alu instid0(VALU_DEP_2) | instskip(NEXT) | instid1(VALU_DEP_2)
	v_add_co_u32 v2, vcc_lo, v2, v9
	v_add_co_ci_u32_e32 v6, vcc_lo, v6, v10, vcc_lo
	s_delay_alu instid0(VALU_DEP_2) | instskip(SKIP_1) | instid1(VALU_DEP_3)
	v_mul_hi_u32 v9, s2, v2
	v_mul_lo_u32 v11, s26, v2
	v_mul_lo_u32 v10, s2, v6
	s_delay_alu instid0(VALU_DEP_1) | instskip(SKIP_1) | instid1(VALU_DEP_2)
	v_add_nc_u32_e32 v9, v9, v10
	v_mul_lo_u32 v10, s2, v2
	v_add_nc_u32_e32 v9, v9, v11
	s_delay_alu instid0(VALU_DEP_2) | instskip(NEXT) | instid1(VALU_DEP_2)
	v_mul_hi_u32 v11, v2, v10
	v_mul_lo_u32 v12, v2, v9
	v_mul_hi_u32 v13, v2, v9
	v_mul_hi_u32 v14, v6, v10
	v_mul_lo_u32 v10, v6, v10
	v_mul_hi_u32 v15, v6, v9
	v_mul_lo_u32 v9, v6, v9
	v_add_co_u32 v11, vcc_lo, v11, v12
	v_add_co_ci_u32_e32 v12, vcc_lo, 0, v13, vcc_lo
	s_delay_alu instid0(VALU_DEP_2) | instskip(NEXT) | instid1(VALU_DEP_2)
	v_add_co_u32 v10, vcc_lo, v11, v10
	v_add_co_ci_u32_e32 v10, vcc_lo, v12, v14, vcc_lo
	v_add_co_ci_u32_e32 v11, vcc_lo, 0, v15, vcc_lo
	s_delay_alu instid0(VALU_DEP_2) | instskip(NEXT) | instid1(VALU_DEP_2)
	v_add_co_u32 v9, vcc_lo, v10, v9
	v_add_co_ci_u32_e32 v10, vcc_lo, 0, v11, vcc_lo
	s_delay_alu instid0(VALU_DEP_2) | instskip(NEXT) | instid1(VALU_DEP_2)
	v_add_co_u32 v2, vcc_lo, v2, v9
	v_add_co_ci_u32_e32 v6, vcc_lo, v6, v10, vcc_lo
	s_delay_alu instid0(VALU_DEP_2) | instskip(SKIP_1) | instid1(VALU_DEP_3)
	v_mul_hi_u32 v15, v7, v2
	v_mad_u64_u32 v[11:12], null, v8, v2, 0
	v_mad_u64_u32 v[9:10], null, v7, v6, 0
	v_mad_u64_u32 v[13:14], null, v8, v6, 0
	s_delay_alu instid0(VALU_DEP_2) | instskip(NEXT) | instid1(VALU_DEP_3)
	v_add_co_u32 v2, vcc_lo, v15, v9
	v_add_co_ci_u32_e32 v6, vcc_lo, 0, v10, vcc_lo
	s_delay_alu instid0(VALU_DEP_2) | instskip(NEXT) | instid1(VALU_DEP_2)
	v_add_co_u32 v2, vcc_lo, v2, v11
	v_add_co_ci_u32_e32 v2, vcc_lo, v6, v12, vcc_lo
	v_add_co_ci_u32_e32 v6, vcc_lo, 0, v14, vcc_lo
	s_delay_alu instid0(VALU_DEP_2) | instskip(NEXT) | instid1(VALU_DEP_2)
	v_add_co_u32 v2, vcc_lo, v2, v13
	v_add_co_ci_u32_e32 v6, vcc_lo, 0, v6, vcc_lo
	s_delay_alu instid0(VALU_DEP_2) | instskip(SKIP_1) | instid1(VALU_DEP_3)
	v_mul_lo_u32 v11, s25, v2
	v_mad_u64_u32 v[9:10], null, s24, v2, 0
	v_mul_lo_u32 v12, s24, v6
	s_delay_alu instid0(VALU_DEP_2) | instskip(NEXT) | instid1(VALU_DEP_2)
	v_sub_co_u32 v9, vcc_lo, v7, v9
	v_add3_u32 v10, v10, v12, v11
	s_delay_alu instid0(VALU_DEP_1) | instskip(NEXT) | instid1(VALU_DEP_1)
	v_sub_nc_u32_e32 v11, v8, v10
	v_subrev_co_ci_u32_e64 v11, s2, s25, v11, vcc_lo
	v_add_co_u32 v12, s2, v2, 2
	s_delay_alu instid0(VALU_DEP_1) | instskip(SKIP_3) | instid1(VALU_DEP_3)
	v_add_co_ci_u32_e64 v13, s2, 0, v6, s2
	v_sub_co_u32 v14, s2, v9, s24
	v_sub_co_ci_u32_e32 v10, vcc_lo, v8, v10, vcc_lo
	v_subrev_co_ci_u32_e64 v11, s2, 0, v11, s2
	v_cmp_le_u32_e32 vcc_lo, s24, v14
	s_delay_alu instid0(VALU_DEP_3) | instskip(SKIP_1) | instid1(VALU_DEP_4)
	v_cmp_eq_u32_e64 s2, s25, v10
	v_cndmask_b32_e64 v14, 0, -1, vcc_lo
	v_cmp_le_u32_e32 vcc_lo, s25, v11
	v_cndmask_b32_e64 v15, 0, -1, vcc_lo
	v_cmp_le_u32_e32 vcc_lo, s24, v9
	;; [unrolled: 2-line block ×3, first 2 shown]
	v_cndmask_b32_e64 v16, 0, -1, vcc_lo
	v_cmp_eq_u32_e32 vcc_lo, s25, v11
	s_delay_alu instid0(VALU_DEP_2) | instskip(SKIP_3) | instid1(VALU_DEP_3)
	v_cndmask_b32_e64 v9, v16, v9, s2
	v_cndmask_b32_e32 v11, v15, v14, vcc_lo
	v_add_co_u32 v14, vcc_lo, v2, 1
	v_add_co_ci_u32_e32 v15, vcc_lo, 0, v6, vcc_lo
	v_cmp_ne_u32_e32 vcc_lo, 0, v11
	s_delay_alu instid0(VALU_DEP_2) | instskip(SKIP_1) | instid1(VALU_DEP_2)
	v_dual_cndmask_b32 v10, v15, v13 :: v_dual_cndmask_b32 v11, v14, v12
	v_cmp_ne_u32_e32 vcc_lo, 0, v9
	v_cndmask_b32_e32 v28, v6, v10, vcc_lo
	s_delay_alu instid0(VALU_DEP_3)
	v_cndmask_b32_e32 v27, v2, v11, vcc_lo
.LBB0_4:                                ;   in Loop: Header=BB0_2 Depth=1
	s_and_not1_saveexec_b32 s2, s3
	s_cbranch_execz .LBB0_6
; %bb.5:                                ;   in Loop: Header=BB0_2 Depth=1
	v_cvt_f32_u32_e32 v2, s24
	s_sub_i32 s3, 0, s24
	v_mov_b32_e32 v28, v5
	s_delay_alu instid0(VALU_DEP_2) | instskip(SKIP_2) | instid1(VALU_DEP_1)
	v_rcp_iflag_f32_e32 v2, v2
	s_waitcnt_depctr 0xfff
	v_mul_f32_e32 v2, 0x4f7ffffe, v2
	v_cvt_u32_f32_e32 v2, v2
	s_delay_alu instid0(VALU_DEP_1) | instskip(NEXT) | instid1(VALU_DEP_1)
	v_mul_lo_u32 v6, s3, v2
	v_mul_hi_u32 v6, v2, v6
	s_delay_alu instid0(VALU_DEP_1) | instskip(NEXT) | instid1(VALU_DEP_1)
	v_add_nc_u32_e32 v2, v2, v6
	v_mul_hi_u32 v2, v7, v2
	s_delay_alu instid0(VALU_DEP_1) | instskip(SKIP_1) | instid1(VALU_DEP_2)
	v_mul_lo_u32 v6, v2, s24
	v_add_nc_u32_e32 v9, 1, v2
	v_sub_nc_u32_e32 v6, v7, v6
	s_delay_alu instid0(VALU_DEP_1) | instskip(SKIP_1) | instid1(VALU_DEP_2)
	v_subrev_nc_u32_e32 v10, s24, v6
	v_cmp_le_u32_e32 vcc_lo, s24, v6
	v_cndmask_b32_e32 v6, v6, v10, vcc_lo
	v_cndmask_b32_e32 v2, v2, v9, vcc_lo
	s_delay_alu instid0(VALU_DEP_2) | instskip(NEXT) | instid1(VALU_DEP_2)
	v_cmp_le_u32_e32 vcc_lo, s24, v6
	v_add_nc_u32_e32 v9, 1, v2
	s_delay_alu instid0(VALU_DEP_1)
	v_cndmask_b32_e32 v27, v2, v9, vcc_lo
.LBB0_6:                                ;   in Loop: Header=BB0_2 Depth=1
	s_or_b32 exec_lo, exec_lo, s2
	v_mul_lo_u32 v2, v28, s24
	s_delay_alu instid0(VALU_DEP_2)
	v_mul_lo_u32 v6, v27, s25
	s_load_b64 s[2:3], s[14:15], 0x0
	v_mad_u64_u32 v[9:10], null, v27, s24, 0
	s_load_b64 s[24:25], s[12:13], 0x0
	s_add_u32 s22, s22, 1
	s_addc_u32 s23, s23, 0
	s_add_u32 s12, s12, 8
	s_addc_u32 s13, s13, 0
	s_add_u32 s14, s14, 8
	s_delay_alu instid0(VALU_DEP_1) | instskip(SKIP_3) | instid1(VALU_DEP_2)
	v_add3_u32 v2, v10, v6, v2
	v_sub_co_u32 v10, vcc_lo, v7, v9
	s_addc_u32 s15, s15, 0
	s_add_u32 s20, s20, 8
	v_sub_co_ci_u32_e32 v2, vcc_lo, v8, v2, vcc_lo
	s_addc_u32 s21, s21, 0
	s_waitcnt lgkmcnt(0)
	s_delay_alu instid0(VALU_DEP_1)
	v_mul_lo_u32 v11, s2, v2
	v_mul_lo_u32 v12, s3, v10
	v_mad_u64_u32 v[6:7], null, s2, v10, v[3:4]
	v_mul_lo_u32 v2, s24, v2
	v_mul_lo_u32 v13, s25, v10
	v_mad_u64_u32 v[8:9], null, s24, v10, v[24:25]
	v_cmp_ge_u64_e64 s2, s[22:23], s[10:11]
	v_add3_u32 v4, v12, v7, v11
	s_delay_alu instid0(VALU_DEP_3) | instskip(NEXT) | instid1(VALU_DEP_4)
	v_dual_mov_b32 v3, v6 :: v_dual_mov_b32 v24, v8
	v_add3_u32 v25, v13, v9, v2
	s_delay_alu instid0(VALU_DEP_4)
	s_and_b32 vcc_lo, exec_lo, s2
	s_cbranch_vccnz .LBB0_8
; %bb.7:                                ;   in Loop: Header=BB0_2 Depth=1
	v_dual_mov_b32 v7, v27 :: v_dual_mov_b32 v8, v28
	s_branch .LBB0_2
.LBB0_8:
	s_load_b64 s[0:1], s[0:1], 0x28
	v_mul_hi_u32 v2, 0x1745d175, v0
	s_lshl_b64 s[10:11], s[10:11], 3
                                        ; implicit-def: $sgpr12_sgpr13
                                        ; implicit-def: $vgpr26
	s_delay_alu instid0(SALU_CYCLE_1) | instskip(SKIP_4) | instid1(VALU_DEP_1)
	s_add_u32 s2, s18, s10
	s_addc_u32 s3, s19, s11
	s_waitcnt lgkmcnt(0)
	v_cmp_gt_u64_e32 vcc_lo, s[0:1], v[27:28]
	v_cmp_le_u64_e64 s0, s[0:1], v[27:28]
	s_and_saveexec_b32 s1, s0
	s_delay_alu instid0(SALU_CYCLE_1)
	s_xor_b32 s0, exec_lo, s1
; %bb.9:
	v_mul_u32_u24_e32 v2, 11, v2
	s_mov_b64 s[12:13], 0
                                        ; implicit-def: $vgpr3_vgpr4
	s_delay_alu instid0(VALU_DEP_1)
	v_sub_nc_u32_e32 v26, v0, v2
                                        ; implicit-def: $vgpr2
                                        ; implicit-def: $vgpr0
; %bb.10:
	s_or_saveexec_b32 s1, s0
	v_dual_mov_b32 v5, s12 :: v_dual_mov_b32 v6, s13
	v_dual_mov_b32 v9, s12 :: v_dual_mov_b32 v10, s13
	;; [unrolled: 1-line block ×5, first 2 shown]
                                        ; implicit-def: $vgpr30
                                        ; implicit-def: $vgpr16
                                        ; implicit-def: $vgpr18
                                        ; implicit-def: $vgpr20
                                        ; implicit-def: $vgpr22
	s_xor_b32 exec_lo, exec_lo, s1
	s_cbranch_execz .LBB0_12
; %bb.11:
	s_add_u32 s10, s16, s10
	s_addc_u32 s11, s17, s11
	s_load_b64 s[10:11], s[10:11], 0x0
	s_waitcnt lgkmcnt(0)
	v_mul_lo_u32 v7, s11, v27
	v_mul_lo_u32 v8, s10, v28
	v_mad_u64_u32 v[5:6], null, s10, v27, 0
	s_delay_alu instid0(VALU_DEP_1) | instskip(SKIP_2) | instid1(VALU_DEP_3)
	v_add3_u32 v6, v6, v8, v7
	v_mul_u32_u24_e32 v7, 11, v2
	v_lshlrev_b64 v[2:3], 3, v[3:4]
	v_lshlrev_b64 v[5:6], 3, v[5:6]
	s_delay_alu instid0(VALU_DEP_3) | instskip(NEXT) | instid1(VALU_DEP_2)
	v_sub_nc_u32_e32 v26, v0, v7
	v_add_co_u32 v0, s0, s4, v5
	s_delay_alu instid0(VALU_DEP_1) | instskip(NEXT) | instid1(VALU_DEP_3)
	v_add_co_ci_u32_e64 v4, s0, s5, v6, s0
	v_lshlrev_b32_e32 v5, 3, v26
	s_delay_alu instid0(VALU_DEP_3) | instskip(NEXT) | instid1(VALU_DEP_1)
	v_add_co_u32 v0, s0, v0, v2
	v_add_co_ci_u32_e64 v3, s0, v4, v3, s0
	s_delay_alu instid0(VALU_DEP_2) | instskip(NEXT) | instid1(VALU_DEP_1)
	v_add_co_u32 v2, s0, v0, v5
	v_add_co_ci_u32_e64 v3, s0, 0, v3, s0
	s_clause 0x9
	global_load_b64 v[15:16], v[2:3], off offset:528
	global_load_b64 v[17:18], v[2:3], off offset:616
	global_load_b64 v[5:6], v[2:3], off
	global_load_b64 v[9:10], v[2:3], off offset:88
	global_load_b64 v[7:8], v[2:3], off offset:176
	;; [unrolled: 1-line block ×7, first 2 shown]
.LBB0_12:
	s_or_b32 exec_lo, exec_lo, s1
	v_mul_hi_u32 v0, 0x38e38e39, v1
	s_waitcnt vmcnt(3)
	v_dual_sub_f32 v2, v5, v29 :: v_dual_sub_f32 v3, v6, v30
	v_dual_sub_f32 v15, v9, v15 :: v_dual_sub_f32 v16, v10, v16
	v_add_nc_u32_e32 v29, 11, v26
	v_and_b32_e32 v43, 1, v26
	s_waitcnt vmcnt(0)
	v_dual_sub_f32 v19, v13, v19 :: v_dual_sub_f32 v20, v14, v20
	v_lshrrev_b32_e32 v0, 2, v0
	v_fma_f32 v9, v9, 2.0, -v15
	v_fma_f32 v10, v10, 2.0, -v16
	s_delay_alu instid0(VALU_DEP_4)
	v_fma_f32 v13, v13, 2.0, -v19
	v_fma_f32 v14, v14, 2.0, -v20
	v_mul_lo_u32 v4, v0, 18
	v_sub_f32_e32 v0, v7, v17
	v_sub_f32_e32 v17, v11, v21
	s_load_b64 s[2:3], s[2:3], 0x0
	v_cmp_gt_u32_e64 s0, 10, v26
	s_delay_alu instid0(VALU_DEP_4)
	v_sub_nc_u32_e32 v4, v1, v4
	v_sub_f32_e32 v1, v8, v18
	v_sub_f32_e32 v18, v12, v22
	v_lshlrev_b32_e32 v22, 5, v43
	v_fma_f32 v11, v11, 2.0, -v17
	v_mul_u32_u24_e32 v21, 0x6e, v4
	v_fma_f32 v4, v5, 2.0, -v2
	v_fma_f32 v5, v6, 2.0, -v3
	v_fma_f32 v6, v7, 2.0, -v0
	v_fma_f32 v7, v8, 2.0, -v1
	v_lshlrev_b32_e32 v30, 3, v21
	v_fma_f32 v12, v12, 2.0, -v18
	s_delay_alu instid0(VALU_DEP_2) | instskip(NEXT) | instid1(VALU_DEP_1)
	v_add_nc_u32_e32 v44, 0, v30
	v_lshl_add_u32 v8, v29, 4, v44
	v_lshl_add_u32 v21, v26, 4, v44
	ds_store_2addr_b64 v8, v[9:10], v[15:16] offset1:1
	ds_store_2addr_b64 v21, v[4:5], v[2:3] offset1:1
	ds_store_2addr_b64 v21, v[6:7], v[0:1] offset0:44 offset1:45
	ds_store_2addr_b64 v21, v[11:12], v[17:18] offset0:66 offset1:67
	ds_store_2addr_b64 v21, v[13:14], v[19:20] offset0:88 offset1:89
	s_waitcnt lgkmcnt(0)
	s_barrier
	buffer_gl0_inv
	global_load_b128 v[6:9], v22, s[8:9]
	v_and_b32_e32 v45, 1, v29
	v_lshrrev_b32_e32 v11, 1, v29
	v_lshrrev_b32_e32 v5, 1, v26
	s_delay_alu instid0(VALU_DEP_3)
	v_lshlrev_b32_e32 v0, 5, v45
	s_clause 0x2
	global_load_b128 v[12:15], v22, s[8:9] offset:16
	global_load_b128 v[16:19], v0, s[8:9]
	global_load_b128 v[20:23], v0, s[8:9] offset:16
	v_lshlrev_b32_e32 v4, 3, v26
	v_mul_u32_u24_e32 v5, 10, v5
	v_mul_u32_u24_e32 v11, 10, v11
	s_delay_alu instid0(VALU_DEP_3)
	v_add3_u32 v10, 0, v4, v30
	ds_load_2addr_b64 v[0:3], v10 offset0:11 offset1:22
	ds_load_2addr_b64 v[29:32], v10 offset0:44 offset1:55
	;; [unrolled: 1-line block ×4, first 2 shown]
	ds_load_2addr_b32 v[41:42], v10 offset0:66 offset1:67
	s_waitcnt vmcnt(3) lgkmcnt(3)
	v_mul_f32_e32 v46, v9, v30
	v_mul_f32_e32 v9, v9, v29
	s_waitcnt vmcnt(2) lgkmcnt(2)
	s_delay_alu instid0(VALU_DEP_2)
	v_dual_fmac_f32 v46, v8, v29 :: v_dual_mul_f32 v47, v13, v34
	s_waitcnt vmcnt(1)
	v_dual_mul_f32 v13, v13, v33 :: v_dual_mul_f32 v50, v32, v19
	v_or_b32_e32 v5, v5, v43
	v_or_b32_e32 v43, v11, v45
	s_waitcnt lgkmcnt(1)
	v_dual_mul_f32 v48, v15, v38 :: v_dual_add_nc_u32 v11, v44, v4
	s_waitcnt vmcnt(0)
	v_dual_mul_f32 v15, v15, v37 :: v_dual_mul_f32 v52, v40, v23
	v_lshl_add_u32 v45, v5, 3, v44
	v_lshl_add_u32 v43, v43, 3, v44
	ds_load_b64 v[4:5], v11
	v_mul_f32_e32 v44, v7, v3
	v_mul_f32_e32 v7, v7, v2
	s_waitcnt lgkmcnt(1)
	v_dual_mul_f32 v49, v42, v17 :: v_dual_fmac_f32 v50, v31, v18
	s_delay_alu instid0(VALU_DEP_3)
	v_dual_mul_f32 v17, v17, v41 :: v_dual_fmac_f32 v44, v6, v2
	v_mul_f32_e32 v19, v31, v19
	v_mul_f32_e32 v23, v39, v23
	v_dual_mul_f32 v51, v36, v21 :: v_dual_fmac_f32 v52, v39, v22
	v_fma_f32 v2, v6, v3, -v7
	v_fma_f32 v3, v8, v30, -v9
	v_fmac_f32_e32 v47, v12, v33
	v_fma_f32 v9, v32, v18, -v19
	v_dual_sub_f32 v18, v46, v44 :: v_dual_mul_f32 v21, v35, v21
	v_fma_f32 v13, v12, v34, -v13
	s_delay_alu instid0(VALU_DEP_4)
	v_add_f32_e32 v8, v46, v47
	v_dual_fmac_f32 v48, v14, v37 :: v_dual_fmac_f32 v51, v35, v20
	v_fma_f32 v29, v14, v38, -v15
	v_fmac_f32_e32 v49, v16, v41
	v_fma_f32 v6, v42, v16, -v17
	v_fma_f32 v16, v36, v20, -v21
	s_waitcnt lgkmcnt(0)
	v_add_f32_e32 v20, v5, v2
	v_fma_f32 v17, v40, v22, -v23
	v_dual_add_f32 v7, v4, v44 :: v_dual_sub_f32 v22, v2, v29
	v_dual_sub_f32 v23, v3, v13 :: v_dual_sub_f32 v12, v44, v46
	v_dual_sub_f32 v14, v48, v47 :: v_dual_sub_f32 v19, v47, v48
	v_dual_add_f32 v15, v44, v48 :: v_dual_sub_f32 v32, v2, v3
	v_dual_add_f32 v21, v3, v13 :: v_dual_sub_f32 v30, v44, v48
	v_sub_f32_e32 v31, v46, v47
	v_dual_sub_f32 v33, v29, v13 :: v_dual_sub_f32 v56, v50, v51
	v_dual_add_f32 v34, v2, v29 :: v_dual_sub_f32 v39, v9, v16
	v_dual_sub_f32 v2, v3, v2 :: v_dual_sub_f32 v35, v13, v29
	v_add_f32_e32 v46, v7, v46
	v_dual_add_f32 v36, v0, v49 :: v_dual_add_f32 v37, v50, v51
	v_dual_sub_f32 v38, v6, v17 :: v_dual_sub_f32 v41, v52, v51
	v_dual_sub_f32 v40, v49, v50 :: v_dual_sub_f32 v53, v51, v52
	v_dual_add_f32 v42, v49, v52 :: v_dual_sub_f32 v57, v6, v9
	v_dual_sub_f32 v44, v50, v49 :: v_dual_add_f32 v55, v9, v16
	v_dual_add_f32 v54, v1, v6 :: v_dual_add_f32 v59, v6, v17
	v_dual_sub_f32 v49, v49, v52 :: v_dual_add_f32 v62, v12, v14
	v_dual_sub_f32 v58, v17, v16 :: v_dual_sub_f32 v61, v16, v17
	v_dual_sub_f32 v60, v9, v6 :: v_dual_add_f32 v63, v18, v19
	v_fma_f32 v6, -0.5, v8, v4
	v_fma_f32 v4, -0.5, v15, v4
	v_add_f32_e32 v3, v20, v3
	v_fma_f32 v7, -0.5, v21, v5
	v_dual_add_f32 v32, v32, v33 :: v_dual_fmac_f32 v5, -0.5, v34
	v_dual_add_f32 v33, v2, v35 :: v_dual_add_f32 v2, v36, v50
	v_fma_f32 v8, -0.5, v37, v0
	v_add_f32_e32 v34, v40, v41
	v_fma_f32 v0, -0.5, v42, v0
	v_add_f32_e32 v19, v54, v9
	v_fma_f32 v9, -0.5, v55, v1
	v_fmac_f32_e32 v1, -0.5, v59
	v_dual_add_f32 v35, v44, v53 :: v_dual_add_f32 v40, v46, v47
	v_dual_add_f32 v36, v57, v58 :: v_dual_add_f32 v37, v60, v61
	v_fmamk_f32 v12, v22, 0xbf737871, v6
	v_fmac_f32_e32 v6, 0x3f737871, v22
	v_fmamk_f32 v14, v23, 0x3f737871, v4
	v_dual_fmac_f32 v4, 0xbf737871, v23 :: v_dual_add_f32 v3, v3, v13
	v_fmamk_f32 v13, v30, 0x3f737871, v7
	v_dual_fmac_f32 v7, 0xbf737871, v30 :: v_dual_fmamk_f32 v18, v38, 0xbf737871, v8
	v_fmamk_f32 v15, v31, 0xbf737871, v5
	v_dual_fmac_f32 v5, 0x3f737871, v31 :: v_dual_fmac_f32 v8, 0x3f737871, v38
	v_dual_add_f32 v41, v2, v51 :: v_dual_fmamk_f32 v20, v39, 0x3f737871, v0
	v_fmac_f32_e32 v0, 0xbf737871, v39
	v_dual_add_f32 v42, v19, v16 :: v_dual_fmamk_f32 v19, v49, 0x3f737871, v9
	v_dual_fmac_f32 v9, 0xbf737871, v49 :: v_dual_add_f32 v2, v40, v48
	s_delay_alu instid0(VALU_DEP_4)
	v_dual_fmamk_f32 v21, v56, 0xbf737871, v1 :: v_dual_add_f32 v16, v41, v52
	v_fmac_f32_e32 v1, 0x3f737871, v56
	v_dual_fmac_f32 v12, 0xbf167918, v23 :: v_dual_add_f32 v3, v3, v29
	v_dual_fmac_f32 v6, 0x3f167918, v23 :: v_dual_fmac_f32 v15, 0x3f167918, v30
	v_dual_fmac_f32 v14, 0xbf167918, v22 :: v_dual_fmac_f32 v7, 0xbf167918, v31
	;; [unrolled: 1-line block ×4, first 2 shown]
	v_dual_fmac_f32 v8, 0x3f167918, v39 :: v_dual_add_f32 v17, v42, v17
	v_dual_fmac_f32 v20, 0xbf167918, v38 :: v_dual_fmac_f32 v9, 0xbf167918, v56
	v_dual_fmac_f32 v0, 0x3f167918, v38 :: v_dual_fmac_f32 v19, 0x3f167918, v56
	v_fmac_f32_e32 v21, 0x3f167918, v49
	v_fmac_f32_e32 v1, 0xbf167918, v49
	v_dual_fmac_f32 v12, 0x3e9e377a, v62 :: v_dual_fmac_f32 v13, 0x3e9e377a, v32
	v_dual_fmac_f32 v6, 0x3e9e377a, v62 :: v_dual_fmac_f32 v7, 0x3e9e377a, v32
	;; [unrolled: 1-line block ×8, first 2 shown]
	s_barrier
	buffer_gl0_inv
	ds_store_2addr_b64 v45, v[2:3], v[12:13] offset1:2
	ds_store_2addr_b64 v45, v[14:15], v[4:5] offset0:4 offset1:6
	ds_store_b64 v45, v[6:7] offset:64
	ds_store_2addr_b64 v43, v[16:17], v[18:19] offset1:2
	ds_store_2addr_b64 v43, v[20:21], v[0:1] offset0:4 offset1:6
	ds_store_b64 v43, v[8:9] offset:64
	s_waitcnt lgkmcnt(0)
	s_barrier
	buffer_gl0_inv
	s_and_saveexec_b32 s1, s0
	s_cbranch_execz .LBB0_14
; %bb.13:
	ds_load_2addr_b64 v[20:23], v10 offset0:70 offset1:80
	ds_load_b64 v[2:3], v11
	ds_load_2addr_b64 v[12:15], v10 offset0:10 offset1:20
	ds_load_2addr_b64 v[4:7], v10 offset0:30 offset1:40
	;; [unrolled: 1-line block ×4, first 2 shown]
	s_waitcnt lgkmcnt(5)
	v_dual_mov_b32 v1, v23 :: v_dual_mov_b32 v0, v22
.LBB0_14:
	s_or_b32 exec_lo, exec_lo, s1
	v_cmp_gt_u32_e64 s1, 10, v26
	s_delay_alu instid0(VALU_DEP_1) | instskip(NEXT) | instid1(SALU_CYCLE_1)
	s_and_b32 s1, vcc_lo, s1
	s_and_saveexec_b32 s4, s1
	s_cbranch_execz .LBB0_16
; %bb.15:
	v_dual_mov_b32 v23, 0 :: v_dual_add_nc_u32 v22, -10, v26
	v_mul_lo_u32 v28, s2, v28
	v_mad_u64_u32 v[49:50], null, s2, v27, 0
	s_delay_alu instid0(VALU_DEP_3) | instskip(SKIP_1) | instid1(VALU_DEP_2)
	v_cndmask_b32_e64 v22, v22, v26, s0
	v_lshlrev_b64 v[24:25], 3, v[24:25]
	v_mul_i32_i24_e32 v22, 10, v22
	s_delay_alu instid0(VALU_DEP_1) | instskip(SKIP_1) | instid1(VALU_DEP_2)
	v_lshlrev_b64 v[29:30], 3, v[22:23]
	v_mul_lo_u32 v22, s3, v27
	v_add_co_u32 v45, vcc_lo, s8, v29
	s_delay_alu instid0(VALU_DEP_3) | instskip(NEXT) | instid1(VALU_DEP_3)
	v_add_co_ci_u32_e32 v46, vcc_lo, s9, v30, vcc_lo
	v_add3_u32 v50, v50, v28, v22
	s_clause 0x4
	global_load_b128 v[29:32], v[45:46], off offset:64
	global_load_b128 v[33:36], v[45:46], off offset:128
	;; [unrolled: 1-line block ×5, first 2 shown]
	v_mov_b32_e32 v27, v23
	v_lshlrev_b64 v[49:50], 3, v[49:50]
	s_delay_alu instid0(VALU_DEP_2) | instskip(NEXT) | instid1(VALU_DEP_2)
	v_lshlrev_b64 v[22:23], 3, v[26:27]
	v_add_co_u32 v28, vcc_lo, s6, v49
	s_delay_alu instid0(VALU_DEP_3) | instskip(NEXT) | instid1(VALU_DEP_2)
	v_add_co_ci_u32_e32 v49, vcc_lo, s7, v50, vcc_lo
	v_add_co_u32 v24, vcc_lo, v28, v24
	s_delay_alu instid0(VALU_DEP_2) | instskip(NEXT) | instid1(VALU_DEP_2)
	v_add_co_ci_u32_e32 v25, vcc_lo, v49, v25, vcc_lo
	v_add_co_u32 v22, vcc_lo, v24, v22
	s_delay_alu instid0(VALU_DEP_2)
	v_add_co_ci_u32_e32 v23, vcc_lo, v25, v23, vcc_lo
	s_waitcnt vmcnt(4) lgkmcnt(3)
	v_mul_f32_e32 v26, v13, v30
	s_waitcnt vmcnt(3) lgkmcnt(0)
	v_dual_mul_f32 v24, v11, v36 :: v_dual_mul_f32 v25, v9, v34
	v_dual_mul_f32 v27, v10, v36 :: v_dual_mul_f32 v28, v12, v30
	s_waitcnt vmcnt(1)
	v_dual_mul_f32 v30, v15, v32 :: v_dual_mul_f32 v51, v21, v42
	v_dual_mul_f32 v34, v8, v34 :: v_dual_mul_f32 v49, v1, v44
	v_dual_mul_f32 v32, v14, v32 :: v_dual_fmac_f32 v25, v8, v33
	s_waitcnt vmcnt(0)
	v_dual_mul_f32 v36, v5, v38 :: v_dual_mul_f32 v53, v19, v48
	v_mul_f32_e32 v44, v0, v44
	v_dual_mul_f32 v50, v7, v40 :: v_dual_fmac_f32 v49, v0, v43
	v_dual_mul_f32 v40, v6, v40 :: v_dual_fmac_f32 v51, v20, v41
	v_fma_f32 v8, v15, v31, -v32
	v_fmac_f32_e32 v53, v18, v47
	v_fmac_f32_e32 v24, v10, v35
	v_fma_f32 v10, v11, v35, -v27
	v_fma_f32 v11, v13, v29, -v28
	v_fmac_f32_e32 v26, v12, v29
	v_fma_f32 v27, v9, v33, -v34
	v_mul_f32_e32 v52, v17, v46
	s_delay_alu instid0(VALU_DEP_4)
	v_dual_mul_f32 v48, v18, v48 :: v_dual_add_f32 v9, v11, v10
	v_fmac_f32_e32 v50, v6, v39
	v_fmac_f32_e32 v36, v4, v37
	v_dual_add_f32 v13, v8, v27 :: v_dual_sub_f32 v28, v11, v10
	v_dual_add_f32 v11, v3, v11 :: v_dual_mul_f32 v38, v4, v38
	v_fma_f32 v4, v7, v39, -v40
	v_dual_sub_f32 v7, v26, v24 :: v_dual_fmac_f32 v52, v16, v45
	v_mul_f32_e32 v42, v20, v42
	s_delay_alu instid0(VALU_DEP_4) | instskip(SKIP_1) | instid1(VALU_DEP_4)
	v_fma_f32 v0, v5, v37, -v38
	v_fma_f32 v5, v19, v47, -v48
	v_mul_f32_e32 v39, 0xbf7d64f0, v7
	v_sub_f32_e32 v19, v52, v53
	v_mul_f32_e32 v46, v16, v46
	v_fma_f32 v15, v1, v43, -v44
	v_add_f32_e32 v35, v50, v51
	v_dual_fmac_f32 v30, v14, v31 :: v_dual_add_f32 v33, v36, v49
	s_delay_alu instid0(VALU_DEP_4) | instskip(SKIP_2) | instid1(VALU_DEP_4)
	v_fma_f32 v6, v17, v45, -v46
	v_sub_f32_e32 v17, v50, v51
	v_fma_f32 v1, v21, v41, -v42
	v_dual_sub_f32 v12, v30, v25 :: v_dual_sub_f32 v31, v8, v27
	v_dual_sub_f32 v14, v36, v49 :: v_dual_mul_f32 v43, 0xbf4178ce, v19
	s_delay_alu instid0(VALU_DEP_3) | instskip(NEXT) | instid1(VALU_DEP_3)
	v_add_f32_e32 v18, v4, v1
	v_dual_add_f32 v20, v6, v5 :: v_dual_mul_f32 v47, 0x3f0a6770, v12
	v_add_f32_e32 v21, v26, v24
	v_dual_add_f32 v26, v2, v26 :: v_dual_mul_f32 v55, 0xbf7d64f0, v19
	v_dual_sub_f32 v32, v0, v15 :: v_dual_mul_f32 v59, 0xbe11bafb, v13
	v_dual_sub_f32 v34, v4, v1 :: v_dual_mul_f32 v57, 0x3f0a6770, v31
	v_sub_f32_e32 v37, v6, v5
	v_dual_mul_f32 v45, 0x3e903f40, v31 :: v_dual_add_f32 v38, v52, v53
	v_mul_f32_e32 v61, 0xbf75a155, v18
	s_delay_alu instid0(VALU_DEP_4)
	v_dual_mul_f32 v46, 0xbe903f40, v7 :: v_dual_mul_f32 v81, 0xbe903f40, v34
	v_mul_f32_e32 v56, 0xbe903f40, v28
	v_mul_f32_e32 v64, 0x3ed4b147, v9
	v_dual_add_f32 v16, v0, v15 :: v_dual_add_f32 v29, v30, v25
	v_mul_f32_e32 v40, 0x3e903f40, v12
	v_mul_f32_e32 v41, 0x3f68dda4, v14
	v_dual_mul_f32 v42, 0xbf0a6770, v17 :: v_dual_mul_f32 v77, 0xbf0a6770, v32
	v_dual_mul_f32 v44, 0xbf7d64f0, v28 :: v_dual_fmamk_f32 v99, v12, 0xbf7d64f0, v59
	v_dual_mul_f32 v48, 0xbf4178ce, v14 :: v_dual_mul_f32 v63, 0xbf4178ce, v28
	v_mul_f32_e32 v54, 0x3f68dda4, v17
	v_dual_mul_f32 v58, 0xbf27a4f4, v9 :: v_dual_mul_f32 v73, 0xbf27a4f4, v18
	v_dual_mul_f32 v62, 0x3ed4b147, v20 :: v_dual_mul_f32 v71, 0x3ed4b147, v13
	v_dual_mul_f32 v65, 0xbf27a4f4, v13 :: v_dual_add_f32 v8, v11, v8
	s_delay_alu instid0(VALU_DEP_2)
	v_dual_mul_f32 v69, 0xbf68dda4, v28 :: v_dual_fmamk_f32 v102, v19, 0xbf68dda4, v62
	v_dual_mul_f32 v28, 0xbf0a6770, v28 :: v_dual_mul_f32 v79, 0xbf0a6770, v34
	v_dual_mul_f32 v70, 0x3f575c64, v9 :: v_dual_add_f32 v11, v26, v30
	v_dual_mul_f32 v78, 0x3e903f40, v32 :: v_dual_fmamk_f32 v101, v17, 0x3e903f40, v61
	v_dual_fmamk_f32 v92, v9, 0xbf75a155, v46 :: v_dual_fmamk_f32 v113, v35, 0xbf75a155, v81
	v_fma_f32 v46, 0xbf75a155, v9, -v46
	v_fmac_f32_e32 v61, 0xbe903f40, v17
	v_fma_f32 v97, 0xbf75a155, v21, -v56
	v_fmamk_f32 v86, v9, 0xbe11bafb, v39
	v_fma_f32 v9, 0xbe11bafb, v9, -v39
	v_fmamk_f32 v39, v7, 0x3f68dda4, v64
	v_fmac_f32_e32 v56, 0xbf75a155, v21
	v_dual_mul_f32 v60, 0x3f575c64, v16 :: v_dual_fmamk_f32 v89, v18, 0x3f575c64, v42
	v_dual_mul_f32 v66, 0xbf75a155, v16 :: v_dual_fmamk_f32 v87, v13, 0xbf75a155, v40
	v_dual_mul_f32 v67, 0xbe11bafb, v18 :: v_dual_mul_f32 v72, 0xbe11bafb, v16
	v_dual_mul_f32 v68, 0x3f575c64, v20 :: v_dual_fmamk_f32 v93, v13, 0x3f575c64, v47
	v_mul_f32_e32 v74, 0xbf75a155, v20
	v_dual_mul_f32 v26, 0x3f7d64f0, v31 :: v_dual_fmac_f32 v59, 0x3f7d64f0, v12
	v_dual_mul_f32 v30, 0xbf4178ce, v31 :: v_dual_mul_f32 v75, 0xbf4178ce, v32
	v_dual_mul_f32 v31, 0xbf68dda4, v31 :: v_dual_add_f32 v0, v8, v0
	v_dual_mul_f32 v80, 0x3f68dda4, v34 :: v_dual_fmamk_f32 v105, v12, 0x3f68dda4, v71
	v_mul_f32_e32 v82, 0x3f7d64f0, v34
	v_dual_mul_f32 v34, 0xbf4178ce, v34 :: v_dual_mul_f32 v83, 0xbf4178ce, v37
	v_fmamk_f32 v90, v20, 0xbf27a4f4, v43
	v_fma_f32 v91, 0xbe11bafb, v21, -v44
	v_dual_fmamk_f32 v94, v16, 0xbf27a4f4, v48 :: v_dual_fmamk_f32 v103, v21, 0xbf27a4f4, v63
	v_dual_fmamk_f32 v88, v16, 0x3ed4b147, v41 :: v_dual_fmamk_f32 v95, v18, 0x3ed4b147, v54
	;; [unrolled: 1-line block ×3, first 2 shown]
	v_fma_f32 v48, 0xbf27a4f4, v16, -v48
	v_fma_f32 v54, 0x3ed4b147, v18, -v54
	v_fma_f32 v55, 0xbe11bafb, v20, -v55
	v_fma_f32 v16, 0x3ed4b147, v16, -v41
	v_fma_f32 v18, 0x3f575c64, v18, -v42
	v_fma_f32 v20, 0xbf27a4f4, v20, -v43
	v_dual_fmamk_f32 v41, v21, 0x3ed4b147, v69 :: v_dual_add_f32 v8, v11, v36
	v_fmamk_f32 v98, v7, 0x3f4178ce, v58
	v_fmac_f32_e32 v58, 0xbf4178ce, v7
	v_dual_fmac_f32 v64, 0xbf68dda4, v7 :: v_dual_fmac_f32 v71, 0xbf68dda4, v12
	v_fma_f32 v43, 0xbf27a4f4, v21, -v63
	v_fmamk_f32 v42, v7, 0x3f0a6770, v70
	v_fma_f32 v112, 0x3f575c64, v35, -v79
	v_add_f32_e32 v39, v3, v39
	v_dual_fmac_f32 v79, 0x3f575c64, v35 :: v_dual_add_f32 v56, v2, v56
	v_fmac_f32_e32 v70, 0xbf0a6770, v7
	v_fmamk_f32 v7, v21, 0x3f575c64, v28
	v_fmac_f32_e32 v44, 0xbe11bafb, v21
	v_dual_mul_f32 v76, 0x3f68dda4, v32 :: v_dual_mul_f32 v85, 0x3f68dda4, v37
	v_mul_f32_e32 v32, 0xbf7d64f0, v32
	v_fma_f32 v47, 0x3f575c64, v13, -v47
	v_fmamk_f32 v100, v14, 0x3f0a6770, v60
	v_fma_f32 v13, 0xbf75a155, v13, -v40
	v_dual_fmamk_f32 v40, v12, 0x3f4178ce, v65 :: v_dual_add_f32 v9, v3, v9
	v_fma_f32 v63, 0x3ed4b147, v21, -v69
	v_fma_f32 v21, 0x3f575c64, v21, -v28
	v_fmamk_f32 v28, v14, 0xbe903f40, v66
	v_fmamk_f32 v69, v17, 0xbf7d64f0, v67
	s_delay_alu instid0(VALU_DEP_4)
	v_dual_fmamk_f32 v104, v19, 0xbf0a6770, v68 :: v_dual_add_f32 v63, v2, v63
	v_fmac_f32_e32 v65, 0xbf4178ce, v12
	v_fmamk_f32 v12, v14, 0x3f7d64f0, v72
	v_dual_fmac_f32 v72, 0xbf7d64f0, v14 :: v_dual_add_f32 v9, v9, v13
	v_fmac_f32_e32 v67, 0x3f7d64f0, v17
	v_dual_fmac_f32 v62, 0x3f68dda4, v19 :: v_dual_add_f32 v39, v39, v40
	v_fma_f32 v106, 0xbf75a155, v29, -v45
	v_fmac_f32_e32 v45, 0xbf75a155, v29
	v_fmamk_f32 v109, v29, 0x3ed4b147, v31
	v_dual_add_f32 v97, v2, v97 :: v_dual_fmac_f32 v60, 0xbf0a6770, v14
	v_dual_add_f32 v103, v2, v103 :: v_dual_fmac_f32 v66, 0x3e903f40, v14
	v_add_f32_e32 v7, v2, v7
	v_add_f32_e32 v44, v2, v44
	v_fmamk_f32 v14, v17, 0x3f4178ce, v73
	v_dual_fmac_f32 v73, 0xbf4178ce, v17 :: v_dual_add_f32 v86, v3, v86
	v_fmamk_f32 v17, v19, 0x3e903f40, v74
	v_fmac_f32_e32 v74, 0xbe903f40, v19
	v_dual_add_f32 v43, v2, v43 :: v_dual_add_f32 v42, v3, v42
	v_fmac_f32_e32 v68, 0x3f0a6770, v19
	v_fma_f32 v19, 0x3f575c64, v29, -v57
	v_dual_mul_f32 v84, 0xbf7d64f0, v37 :: v_dual_add_f32 v91, v2, v91
	v_dual_fmac_f32 v57, 0x3f575c64, v29 :: v_dual_add_f32 v92, v3, v92
	v_fma_f32 v11, 0xbf27a4f4, v33, -v75
	v_dual_fmamk_f32 v111, v33, 0xbe11bafb, v32 :: v_dual_add_f32 v46, v3, v46
	v_add_f32_e32 v19, v97, v19
	v_fma_f32 v26, 0xbe11bafb, v29, -v26
	v_dual_fmamk_f32 v108, v29, 0xbf27a4f4, v30 :: v_dual_fmac_f32 v75, 0xbf27a4f4, v33
	v_fma_f32 v30, 0xbf27a4f4, v29, -v30
	v_fma_f32 v29, 0x3ed4b147, v29, -v31
	;; [unrolled: 1-line block ×3, first 2 shown]
	v_fmac_f32_e32 v76, 0x3ed4b147, v33
	v_fmamk_f32 v110, v33, 0xbf75a155, v78
	v_fma_f32 v78, 0xbf75a155, v33, -v78
	v_fma_f32 v32, 0xbe11bafb, v33, -v32
	v_dual_add_f32 v41, v2, v41 :: v_dual_add_f32 v98, v3, v98
	v_dual_add_f32 v58, v3, v58 :: v_dual_add_f32 v9, v9, v16
	v_add_f32_e32 v64, v3, v64
	v_add_f32_e32 v2, v2, v21
	v_fma_f32 v21, 0xbe11bafb, v38, -v84
	v_dual_fmac_f32 v84, 0xbe11bafb, v38 :: v_dual_add_f32 v11, v19, v11
	v_dual_add_f32 v46, v46, v47 :: v_dual_add_f32 v47, v56, v57
	v_dual_add_f32 v3, v3, v70 :: v_dual_fmamk_f32 v36, v33, 0x3f575c64, v77
	v_fma_f32 v77, 0x3f575c64, v33, -v77
	v_fma_f32 v33, 0x3ed4b147, v35, -v80
	;; [unrolled: 1-line block ×3, first 2 shown]
	s_delay_alu instid0(VALU_DEP_4)
	v_add_f32_e32 v3, v3, v71
	v_fmamk_f32 v115, v35, 0xbf27a4f4, v34
	v_fma_f32 v34, 0xbf27a4f4, v35, -v34
	v_add_f32_e32 v11, v11, v33
	v_dual_fmamk_f32 v114, v35, 0xbe11bafb, v82 :: v_dual_add_f32 v19, v46, v48
	v_fma_f32 v82, 0xbe11bafb, v35, -v82
	v_add_f32_e32 v0, v0, v4
	v_add_f32_e32 v4, v8, v50
	s_delay_alu instid0(VALU_DEP_4)
	v_dual_add_f32 v50, v92, v93 :: v_dual_add_f32 v19, v19, v54
	v_fmac_f32_e32 v80, 0x3ed4b147, v35
	v_mul_f32_e32 v35, 0x3f0a6770, v37
	v_dual_mul_f32 v37, 0xbe903f40, v37 :: v_dual_add_f32 v8, v86, v87
	v_add_f32_e32 v3, v3, v72
	v_add_f32_e32 v9, v9, v18
	s_delay_alu instid0(VALU_DEP_4)
	v_fmamk_f32 v117, v38, 0x3f575c64, v35
	v_add_f32_e32 v56, v98, v99
	v_add_f32_e32 v26, v43, v26
	v_fma_f32 v70, 0xbf27a4f4, v38, -v83
	v_add_f32_e32 v9, v9, v20
	v_fmac_f32_e32 v83, 0xbf27a4f4, v38
	v_add_f32_e32 v43, v56, v100
	v_fma_f32 v35, 0x3f575c64, v38, -v35
	v_dual_add_f32 v13, v44, v45 :: v_dual_fmamk_f32 v116, v38, 0x3ed4b147, v85
	v_fma_f32 v85, 0x3ed4b147, v38, -v85
	v_dual_add_f32 v7, v7, v109 :: v_dual_fmamk_f32 v118, v38, 0xbf75a155, v37
	v_fma_f32 v37, 0xbf75a155, v38, -v37
	v_add_f32_e32 v38, v91, v106
	v_dual_add_f32 v33, v43, v101 :: v_dual_add_f32 v8, v8, v88
	v_add_f32_e32 v13, v13, v76
	v_add_f32_e32 v16, v39, v28
	;; [unrolled: 1-line block ×3, first 2 shown]
	s_delay_alu instid0(VALU_DEP_4) | instskip(SKIP_3) | instid1(VALU_DEP_3)
	v_dual_add_f32 v57, v103, v107 :: v_dual_add_f32 v8, v8, v89
	v_add_f32_e32 v2, v2, v29
	v_add_f32_e32 v29, v38, v31
	;; [unrolled: 1-line block ×3, first 2 shown]
	v_dual_add_f32 v13, v13, v79 :: v_dual_add_f32 v2, v2, v32
	s_delay_alu instid0(VALU_DEP_3) | instskip(NEXT) | instid1(VALU_DEP_3)
	v_add_f32_e32 v29, v29, v112
	v_dual_add_f32 v31, v31, v95 :: v_dual_add_f32 v0, v0, v6
	v_add_f32_e32 v6, v58, v59
	s_delay_alu instid0(VALU_DEP_4) | instskip(SKIP_1) | instid1(VALU_DEP_3)
	v_add_f32_e32 v34, v2, v34
	v_add_f32_e32 v2, v11, v21
	v_dual_add_f32 v0, v0, v5 :: v_dual_add_f32 v5, v6, v60
	v_add_f32_e32 v6, v26, v77
	v_dual_add_f32 v40, v41, v108 :: v_dual_add_f32 v41, v42, v105
	v_add_f32_e32 v4, v4, v52
	v_add_f32_e32 v42, v64, v65
	s_delay_alu instid0(VALU_DEP_3) | instskip(NEXT) | instid1(VALU_DEP_4)
	v_dual_add_f32 v12, v41, v12 :: v_dual_add_f32 v41, v6, v81
	v_add_f32_e32 v28, v40, v110
	v_dual_add_f32 v40, v5, v61 :: v_dual_add_f32 v5, v19, v55
	v_add_f32_e32 v4, v4, v53
	v_add_f32_e32 v26, v42, v66
	s_delay_alu instid0(VALU_DEP_4)
	v_add_f32_e32 v18, v28, v114
	v_add_f32_e32 v28, v7, v115
	v_add_f32_e32 v38, v47, v75
	v_add_f32_e32 v30, v63, v30
	v_dual_add_f32 v14, v12, v14 :: v_dual_add_f32 v39, v51, v4
	v_add_f32_e32 v26, v26, v67
	s_delay_alu instid0(VALU_DEP_4) | instskip(SKIP_3) | instid1(VALU_DEP_3)
	v_add_f32_e32 v32, v38, v80
	v_add_f32_e32 v38, v1, v0
	v_dual_add_f32 v36, v57, v36 :: v_dual_add_f32 v11, v18, v117
	v_add_f32_e32 v30, v30, v78
	v_dual_add_f32 v14, v14, v17 :: v_dual_add_f32 v17, v15, v38
	s_delay_alu instid0(VALU_DEP_3) | instskip(SKIP_1) | instid1(VALU_DEP_4)
	v_dual_add_f32 v36, v36, v113 :: v_dual_add_f32 v19, v49, v39
	v_add_f32_e32 v16, v16, v69
	v_add_f32_e32 v30, v30, v82
	v_dual_add_f32 v42, v3, v73 :: v_dual_add_f32 v7, v33, v102
	s_delay_alu instid0(VALU_DEP_4)
	v_add_f32_e32 v6, v36, v116
	v_dual_add_f32 v18, v26, v68 :: v_dual_add_f32 v21, v27, v17
	v_add_f32_e32 v26, v25, v19
	v_add_f32_e32 v4, v32, v84
	;; [unrolled: 1-line block ×4, first 2 shown]
	v_dual_add_f32 v16, v40, v62 :: v_dual_add_f32 v15, v41, v85
	v_add_f32_e32 v1, v8, v90
	v_add_f32_e32 v0, v29, v70
	v_dual_add_f32 v8, v13, v83 :: v_dual_add_f32 v13, v28, v118
	v_add_f32_e32 v17, v30, v35
	v_add_f32_e32 v20, v42, v74
	;; [unrolled: 1-line block ×3, first 2 shown]
	v_dual_add_f32 v25, v10, v21 :: v_dual_add_f32 v24, v24, v26
	s_clause 0xa
	global_store_b64 v[22:23], v[6:7], off offset:320
	global_store_b64 v[22:23], v[4:5], off offset:400
	;; [unrolled: 1-line block ×7, first 2 shown]
	global_store_b64 v[22:23], v[24:25], off
	global_store_b64 v[22:23], v[0:1], off offset:640
	global_store_b64 v[22:23], v[17:18], off offset:720
	;; [unrolled: 1-line block ×3, first 2 shown]
.LBB0_16:
	s_nop 0
	s_sendmsg sendmsg(MSG_DEALLOC_VGPRS)
	s_endpgm
	.section	.rodata,"a",@progbits
	.p2align	6, 0x0
	.amdhsa_kernel fft_rtc_back_len110_factors_2_5_11_wgs_198_tpt_11_sp_op_CI_CI_unitstride_sbrr_dirReg
		.amdhsa_group_segment_fixed_size 0
		.amdhsa_private_segment_fixed_size 0
		.amdhsa_kernarg_size 104
		.amdhsa_user_sgpr_count 15
		.amdhsa_user_sgpr_dispatch_ptr 0
		.amdhsa_user_sgpr_queue_ptr 0
		.amdhsa_user_sgpr_kernarg_segment_ptr 1
		.amdhsa_user_sgpr_dispatch_id 0
		.amdhsa_user_sgpr_private_segment_size 0
		.amdhsa_wavefront_size32 1
		.amdhsa_uses_dynamic_stack 0
		.amdhsa_enable_private_segment 0
		.amdhsa_system_sgpr_workgroup_id_x 1
		.amdhsa_system_sgpr_workgroup_id_y 0
		.amdhsa_system_sgpr_workgroup_id_z 0
		.amdhsa_system_sgpr_workgroup_info 0
		.amdhsa_system_vgpr_workitem_id 0
		.amdhsa_next_free_vgpr 119
		.amdhsa_next_free_sgpr 27
		.amdhsa_reserve_vcc 1
		.amdhsa_float_round_mode_32 0
		.amdhsa_float_round_mode_16_64 0
		.amdhsa_float_denorm_mode_32 3
		.amdhsa_float_denorm_mode_16_64 3
		.amdhsa_dx10_clamp 1
		.amdhsa_ieee_mode 1
		.amdhsa_fp16_overflow 0
		.amdhsa_workgroup_processor_mode 1
		.amdhsa_memory_ordered 1
		.amdhsa_forward_progress 0
		.amdhsa_shared_vgpr_count 0
		.amdhsa_exception_fp_ieee_invalid_op 0
		.amdhsa_exception_fp_denorm_src 0
		.amdhsa_exception_fp_ieee_div_zero 0
		.amdhsa_exception_fp_ieee_overflow 0
		.amdhsa_exception_fp_ieee_underflow 0
		.amdhsa_exception_fp_ieee_inexact 0
		.amdhsa_exception_int_div_zero 0
	.end_amdhsa_kernel
	.text
.Lfunc_end0:
	.size	fft_rtc_back_len110_factors_2_5_11_wgs_198_tpt_11_sp_op_CI_CI_unitstride_sbrr_dirReg, .Lfunc_end0-fft_rtc_back_len110_factors_2_5_11_wgs_198_tpt_11_sp_op_CI_CI_unitstride_sbrr_dirReg
                                        ; -- End function
	.section	.AMDGPU.csdata,"",@progbits
; Kernel info:
; codeLenInByte = 5500
; NumSgprs: 29
; NumVgprs: 119
; ScratchSize: 0
; MemoryBound: 0
; FloatMode: 240
; IeeeMode: 1
; LDSByteSize: 0 bytes/workgroup (compile time only)
; SGPRBlocks: 3
; VGPRBlocks: 14
; NumSGPRsForWavesPerEU: 29
; NumVGPRsForWavesPerEU: 119
; Occupancy: 12
; WaveLimiterHint : 1
; COMPUTE_PGM_RSRC2:SCRATCH_EN: 0
; COMPUTE_PGM_RSRC2:USER_SGPR: 15
; COMPUTE_PGM_RSRC2:TRAP_HANDLER: 0
; COMPUTE_PGM_RSRC2:TGID_X_EN: 1
; COMPUTE_PGM_RSRC2:TGID_Y_EN: 0
; COMPUTE_PGM_RSRC2:TGID_Z_EN: 0
; COMPUTE_PGM_RSRC2:TIDIG_COMP_CNT: 0
	.text
	.p2alignl 7, 3214868480
	.fill 96, 4, 3214868480
	.type	__hip_cuid_67f22ccb1ede86f6,@object ; @__hip_cuid_67f22ccb1ede86f6
	.section	.bss,"aw",@nobits
	.globl	__hip_cuid_67f22ccb1ede86f6
__hip_cuid_67f22ccb1ede86f6:
	.byte	0                               ; 0x0
	.size	__hip_cuid_67f22ccb1ede86f6, 1

	.ident	"AMD clang version 19.0.0git (https://github.com/RadeonOpenCompute/llvm-project roc-6.4.0 25133 c7fe45cf4b819c5991fe208aaa96edf142730f1d)"
	.section	".note.GNU-stack","",@progbits
	.addrsig
	.addrsig_sym __hip_cuid_67f22ccb1ede86f6
	.amdgpu_metadata
---
amdhsa.kernels:
  - .args:
      - .actual_access:  read_only
        .address_space:  global
        .offset:         0
        .size:           8
        .value_kind:     global_buffer
      - .offset:         8
        .size:           8
        .value_kind:     by_value
      - .actual_access:  read_only
        .address_space:  global
        .offset:         16
        .size:           8
        .value_kind:     global_buffer
      - .actual_access:  read_only
        .address_space:  global
        .offset:         24
        .size:           8
        .value_kind:     global_buffer
      - .actual_access:  read_only
        .address_space:  global
        .offset:         32
        .size:           8
        .value_kind:     global_buffer
      - .offset:         40
        .size:           8
        .value_kind:     by_value
      - .actual_access:  read_only
        .address_space:  global
        .offset:         48
        .size:           8
        .value_kind:     global_buffer
      - .actual_access:  read_only
        .address_space:  global
        .offset:         56
        .size:           8
        .value_kind:     global_buffer
      - .offset:         64
        .size:           4
        .value_kind:     by_value
      - .actual_access:  read_only
        .address_space:  global
        .offset:         72
        .size:           8
        .value_kind:     global_buffer
      - .actual_access:  read_only
        .address_space:  global
        .offset:         80
        .size:           8
        .value_kind:     global_buffer
      - .actual_access:  read_only
        .address_space:  global
        .offset:         88
        .size:           8
        .value_kind:     global_buffer
      - .actual_access:  write_only
        .address_space:  global
        .offset:         96
        .size:           8
        .value_kind:     global_buffer
    .group_segment_fixed_size: 0
    .kernarg_segment_align: 8
    .kernarg_segment_size: 104
    .language:       OpenCL C
    .language_version:
      - 2
      - 0
    .max_flat_workgroup_size: 198
    .name:           fft_rtc_back_len110_factors_2_5_11_wgs_198_tpt_11_sp_op_CI_CI_unitstride_sbrr_dirReg
    .private_segment_fixed_size: 0
    .sgpr_count:     29
    .sgpr_spill_count: 0
    .symbol:         fft_rtc_back_len110_factors_2_5_11_wgs_198_tpt_11_sp_op_CI_CI_unitstride_sbrr_dirReg.kd
    .uniform_work_group_size: 1
    .uses_dynamic_stack: false
    .vgpr_count:     119
    .vgpr_spill_count: 0
    .wavefront_size: 32
    .workgroup_processor_mode: 1
amdhsa.target:   amdgcn-amd-amdhsa--gfx1100
amdhsa.version:
  - 1
  - 2
...

	.end_amdgpu_metadata
